;; amdgpu-corpus repo=ROCm/rocFFT kind=compiled arch=gfx1201 opt=O3
	.text
	.amdgcn_target "amdgcn-amd-amdhsa--gfx1201"
	.amdhsa_code_object_version 6
	.protected	fft_rtc_fwd_len64_factors_4_4_4_wgs_64_tpt_4_halfLds_dim2_sp_ip_CI_sbcc_twdbase8_2step_dirReg_intrinsicReadWrite ; -- Begin function fft_rtc_fwd_len64_factors_4_4_4_wgs_64_tpt_4_halfLds_dim2_sp_ip_CI_sbcc_twdbase8_2step_dirReg_intrinsicReadWrite
	.globl	fft_rtc_fwd_len64_factors_4_4_4_wgs_64_tpt_4_halfLds_dim2_sp_ip_CI_sbcc_twdbase8_2step_dirReg_intrinsicReadWrite
	.p2align	8
	.type	fft_rtc_fwd_len64_factors_4_4_4_wgs_64_tpt_4_halfLds_dim2_sp_ip_CI_sbcc_twdbase8_2step_dirReg_intrinsicReadWrite,@function
fft_rtc_fwd_len64_factors_4_4_4_wgs_64_tpt_4_halfLds_dim2_sp_ip_CI_sbcc_twdbase8_2step_dirReg_intrinsicReadWrite: ; @fft_rtc_fwd_len64_factors_4_4_4_wgs_64_tpt_4_halfLds_dim2_sp_ip_CI_sbcc_twdbase8_2step_dirReg_intrinsicReadWrite
; %bb.0:
	s_load_b128 s[4:7], s[0:1], 0x10
	s_mov_b32 s10, ttmp9
	s_mov_b32 s11, 0
	s_mov_b64 s[14:15], 0
	s_wait_kmcnt 0x0
	s_load_b64 s[8:9], s[4:5], 0x8
	s_load_b64 s[2:3], s[0:1], 0x50
	;; [unrolled: 1-line block ×3, first 2 shown]
	s_wait_kmcnt 0x0
	s_add_nc_u64 s[12:13], s[8:9], -1
	s_delay_alu instid0(SALU_CYCLE_1) | instskip(NEXT) | instid1(SALU_CYCLE_1)
	s_lshr_b64 s[12:13], s[12:13], 4
	s_add_nc_u64 s[12:13], s[12:13], 1
	s_delay_alu instid0(SALU_CYCLE_1) | instskip(NEXT) | instid1(VALU_DEP_1)
	v_cmp_lt_u64_e64 s5, s[10:11], s[12:13]
	s_and_b32 vcc_lo, exec_lo, s5
	s_cbranch_vccnz .LBB0_2
; %bb.1:
	v_cvt_f32_u32_e32 v1, s12
	s_sub_co_i32 s14, 0, s12
	s_delay_alu instid0(VALU_DEP_1) | instskip(NEXT) | instid1(TRANS32_DEP_1)
	v_rcp_iflag_f32_e32 v1, v1
	v_mul_f32_e32 v1, 0x4f7ffffe, v1
	s_delay_alu instid0(VALU_DEP_1) | instskip(NEXT) | instid1(VALU_DEP_1)
	v_cvt_u32_f32_e32 v1, v1
	v_readfirstlane_b32 s5, v1
	s_delay_alu instid0(VALU_DEP_1) | instskip(NEXT) | instid1(SALU_CYCLE_1)
	s_mul_i32 s14, s14, s5
	s_mul_hi_u32 s14, s5, s14
	s_delay_alu instid0(SALU_CYCLE_1) | instskip(NEXT) | instid1(SALU_CYCLE_1)
	s_add_co_i32 s5, s5, s14
	s_mul_hi_u32 s5, s10, s5
	s_delay_alu instid0(SALU_CYCLE_1) | instskip(SKIP_2) | instid1(SALU_CYCLE_1)
	s_mul_i32 s14, s5, s12
	s_add_co_i32 s15, s5, 1
	s_sub_co_i32 s14, s10, s14
	s_sub_co_i32 s16, s14, s12
	s_cmp_ge_u32 s14, s12
	s_cselect_b32 s5, s15, s5
	s_cselect_b32 s14, s16, s14
	s_add_co_i32 s15, s5, 1
	s_cmp_ge_u32 s14, s12
	s_cselect_b32 s14, s15, s5
	s_mov_b32 s15, s11
.LBB0_2:
	s_load_b128 s[16:19], s[6:7], 0x8
	v_and_b32_e32 v40, 15, v0
	s_mul_u64 s[6:7], s[14:15], s[12:13]
	v_lshrrev_b32_e32 v36, 4, v0
	s_sub_nc_u64 s[6:7], s[10:11], s[6:7]
	v_mov_b32_e32 v7, 0
	s_lshl_b64 s[6:7], s[6:7], 4
	s_delay_alu instid0(SALU_CYCLE_1) | instskip(SKIP_4) | instid1(VALU_DEP_2)
	v_or_b32_e32 v3, s6, v40
	v_mov_b32_e32 v4, s7
	s_add_nc_u64 s[10:11], s[6:7], 16
	s_wait_alu 0xfffe
	v_cmp_le_u64_e64 s5, s[10:11], s[8:9]
	v_cmp_gt_u64_e32 vcc_lo, s[8:9], v[3:4]
	s_delay_alu instid0(VALU_DEP_2)
	s_or_b32 s5, s5, vcc_lo
	s_wait_kmcnt 0x0
	v_mad_co_u64_u32 v[1:2], null, s16, v40, 0
	s_mul_u64 s[6:7], s[6:7], s[16:17]
	s_mul_u64 s[10:11], s[18:19], s[14:15]
	s_wait_alu 0xfffe
	s_add_nc_u64 s[6:7], s[10:11], s[6:7]
	s_delay_alu instid0(VALU_DEP_1)
	v_mad_co_u64_u32 v[5:6], null, s17, v40, v[2:3]
	v_dual_mov_b32 v5, 0 :: v_dual_mov_b32 v6, 0
	s_and_saveexec_b32 s7, s5
	s_cbranch_execz .LBB0_4
; %bb.3:
	v_mul_lo_u32 v2, s4, v36
	v_mov_b32_e32 v7, 0
	s_wait_alu 0xfffe
	s_delay_alu instid0(VALU_DEP_2) | instskip(NEXT) | instid1(VALU_DEP_1)
	v_add3_u32 v6, s6, v1, v2
	v_lshlrev_b64_e32 v[6:7], 3, v[6:7]
	s_delay_alu instid0(VALU_DEP_1) | instskip(NEXT) | instid1(VALU_DEP_2)
	v_add_co_u32 v6, vcc_lo, s2, v6
	v_add_co_ci_u32_e32 v7, vcc_lo, s3, v7, vcc_lo
	global_load_b64 v[6:7], v[6:7], off
.LBB0_4:
	s_wait_alu 0xfffe
	s_or_b32 exec_lo, exec_lo, s7
	v_mov_b32_e32 v4, 0
	s_and_saveexec_b32 s7, s5
	s_cbranch_execz .LBB0_6
; %bb.5:
	v_dual_mov_b32 v5, 0 :: v_dual_add_nc_u32 v2, 16, v36
	s_delay_alu instid0(VALU_DEP_1) | instskip(NEXT) | instid1(VALU_DEP_1)
	v_mul_lo_u32 v2, s4, v2
	v_add3_u32 v4, s6, v1, v2
	s_delay_alu instid0(VALU_DEP_1) | instskip(NEXT) | instid1(VALU_DEP_1)
	v_lshlrev_b64_e32 v[4:5], 3, v[4:5]
	v_add_co_u32 v4, vcc_lo, s2, v4
	s_wait_alu 0xfffd
	s_delay_alu instid0(VALU_DEP_2)
	v_add_co_ci_u32_e32 v5, vcc_lo, s3, v5, vcc_lo
	global_load_b64 v[4:5], v[4:5], off
.LBB0_6:
	s_wait_alu 0xfffe
	s_or_b32 exec_lo, exec_lo, s7
	v_dual_mov_b32 v9, 0 :: v_dual_mov_b32 v10, 0
	v_mov_b32_e32 v11, 0
	s_and_saveexec_b32 s7, s5
	s_cbranch_execz .LBB0_8
; %bb.7:
	v_dual_mov_b32 v11, 0 :: v_dual_add_nc_u32 v2, 32, v36
	s_delay_alu instid0(VALU_DEP_1) | instskip(NEXT) | instid1(VALU_DEP_1)
	v_mul_lo_u32 v2, s4, v2
	v_add3_u32 v10, s6, v1, v2
	s_delay_alu instid0(VALU_DEP_1) | instskip(NEXT) | instid1(VALU_DEP_1)
	v_lshlrev_b64_e32 v[10:11], 3, v[10:11]
	v_add_co_u32 v10, vcc_lo, s2, v10
	s_wait_alu 0xfffd
	s_delay_alu instid0(VALU_DEP_2)
	v_add_co_ci_u32_e32 v11, vcc_lo, s3, v11, vcc_lo
	global_load_b64 v[10:11], v[10:11], off
.LBB0_8:
	s_wait_alu 0xfffe
	s_or_b32 exec_lo, exec_lo, s7
	v_mov_b32_e32 v8, 0
	s_and_saveexec_b32 s7, s5
	s_cbranch_execz .LBB0_10
; %bb.9:
	v_dual_mov_b32 v9, 0 :: v_dual_add_nc_u32 v2, 48, v36
	s_delay_alu instid0(VALU_DEP_1) | instskip(NEXT) | instid1(VALU_DEP_1)
	v_mul_lo_u32 v2, s4, v2
	v_add3_u32 v8, s6, v1, v2
	s_delay_alu instid0(VALU_DEP_1) | instskip(NEXT) | instid1(VALU_DEP_1)
	v_lshlrev_b64_e32 v[8:9], 3, v[8:9]
	v_add_co_u32 v8, vcc_lo, s2, v8
	s_wait_alu 0xfffd
	s_delay_alu instid0(VALU_DEP_2)
	v_add_co_ci_u32_e32 v9, vcc_lo, s3, v9, vcc_lo
	global_load_b64 v[8:9], v[8:9], off
.LBB0_10:
	s_wait_alu 0xfffe
	s_or_b32 exec_lo, exec_lo, s7
	v_dual_mov_b32 v14, 0 :: v_dual_add_nc_u32 v37, 4, v36
	v_mov_b32_e32 v13, 0
	v_mov_b32_e32 v15, 0
	s_and_saveexec_b32 s7, s5
	s_cbranch_execz .LBB0_12
; %bb.11:
	v_mul_lo_u32 v2, s4, v37
	v_mov_b32_e32 v15, 0
	s_delay_alu instid0(VALU_DEP_2) | instskip(NEXT) | instid1(VALU_DEP_1)
	v_add3_u32 v14, s6, v1, v2
	v_lshlrev_b64_e32 v[14:15], 3, v[14:15]
	s_delay_alu instid0(VALU_DEP_1) | instskip(SKIP_1) | instid1(VALU_DEP_2)
	v_add_co_u32 v14, vcc_lo, s2, v14
	s_wait_alu 0xfffd
	v_add_co_ci_u32_e32 v15, vcc_lo, s3, v15, vcc_lo
	global_load_b64 v[14:15], v[14:15], off
.LBB0_12:
	s_wait_alu 0xfffe
	s_or_b32 exec_lo, exec_lo, s7
	v_mov_b32_e32 v12, 0
	s_and_saveexec_b32 s7, s5
	s_cbranch_execz .LBB0_14
; %bb.13:
	v_dual_mov_b32 v13, 0 :: v_dual_add_nc_u32 v2, 20, v36
	s_delay_alu instid0(VALU_DEP_1) | instskip(NEXT) | instid1(VALU_DEP_1)
	v_mul_lo_u32 v2, s4, v2
	v_add3_u32 v12, s6, v1, v2
	s_delay_alu instid0(VALU_DEP_1) | instskip(NEXT) | instid1(VALU_DEP_1)
	v_lshlrev_b64_e32 v[12:13], 3, v[12:13]
	v_add_co_u32 v12, vcc_lo, s2, v12
	s_wait_alu 0xfffd
	s_delay_alu instid0(VALU_DEP_2)
	v_add_co_ci_u32_e32 v13, vcc_lo, s3, v13, vcc_lo
	global_load_b64 v[12:13], v[12:13], off
.LBB0_14:
	s_wait_alu 0xfffe
	s_or_b32 exec_lo, exec_lo, s7
	v_dual_mov_b32 v17, 0 :: v_dual_mov_b32 v18, 0
	v_mov_b32_e32 v19, 0
	s_and_saveexec_b32 s7, s5
	s_cbranch_execz .LBB0_16
; %bb.15:
	v_dual_mov_b32 v19, 0 :: v_dual_add_nc_u32 v2, 36, v36
	s_delay_alu instid0(VALU_DEP_1) | instskip(NEXT) | instid1(VALU_DEP_1)
	v_mul_lo_u32 v2, s4, v2
	v_add3_u32 v18, s6, v1, v2
	s_delay_alu instid0(VALU_DEP_1) | instskip(NEXT) | instid1(VALU_DEP_1)
	v_lshlrev_b64_e32 v[18:19], 3, v[18:19]
	v_add_co_u32 v18, vcc_lo, s2, v18
	s_wait_alu 0xfffd
	s_delay_alu instid0(VALU_DEP_2)
	v_add_co_ci_u32_e32 v19, vcc_lo, s3, v19, vcc_lo
	global_load_b64 v[18:19], v[18:19], off
.LBB0_16:
	s_wait_alu 0xfffe
	s_or_b32 exec_lo, exec_lo, s7
	v_mov_b32_e32 v16, 0
	s_and_saveexec_b32 s7, s5
	s_cbranch_execz .LBB0_18
; %bb.17:
	v_dual_mov_b32 v17, 0 :: v_dual_add_nc_u32 v2, 52, v36
	s_delay_alu instid0(VALU_DEP_1) | instskip(NEXT) | instid1(VALU_DEP_1)
	v_mul_lo_u32 v2, s4, v2
	v_add3_u32 v16, s6, v1, v2
	s_delay_alu instid0(VALU_DEP_1) | instskip(NEXT) | instid1(VALU_DEP_1)
	v_lshlrev_b64_e32 v[16:17], 3, v[16:17]
	v_add_co_u32 v16, vcc_lo, s2, v16
	s_wait_alu 0xfffd
	s_delay_alu instid0(VALU_DEP_2)
	v_add_co_ci_u32_e32 v17, vcc_lo, s3, v17, vcc_lo
	global_load_b64 v[16:17], v[16:17], off
.LBB0_18:
	s_wait_alu 0xfffe
	s_or_b32 exec_lo, exec_lo, s7
	v_dual_mov_b32 v21, 0 :: v_dual_add_nc_u32 v38, 8, v36
	v_dual_mov_b32 v23, 0 :: v_dual_mov_b32 v22, 0
	s_and_saveexec_b32 s7, s5
	s_cbranch_execz .LBB0_20
; %bb.19:
	s_delay_alu instid0(VALU_DEP_2) | instskip(SKIP_1) | instid1(VALU_DEP_2)
	v_mul_lo_u32 v2, s4, v38
	v_mov_b32_e32 v23, 0
	v_add3_u32 v22, s6, v1, v2
	s_delay_alu instid0(VALU_DEP_1) | instskip(NEXT) | instid1(VALU_DEP_1)
	v_lshlrev_b64_e32 v[22:23], 3, v[22:23]
	v_add_co_u32 v22, vcc_lo, s2, v22
	s_wait_alu 0xfffd
	s_delay_alu instid0(VALU_DEP_2)
	v_add_co_ci_u32_e32 v23, vcc_lo, s3, v23, vcc_lo
	global_load_b64 v[22:23], v[22:23], off
.LBB0_20:
	s_wait_alu 0xfffe
	s_or_b32 exec_lo, exec_lo, s7
	v_mov_b32_e32 v20, 0
	s_and_saveexec_b32 s7, s5
	s_cbranch_execz .LBB0_22
; %bb.21:
	v_dual_mov_b32 v21, 0 :: v_dual_add_nc_u32 v2, 24, v36
	s_delay_alu instid0(VALU_DEP_1) | instskip(NEXT) | instid1(VALU_DEP_1)
	v_mul_lo_u32 v2, s4, v2
	v_add3_u32 v20, s6, v1, v2
	s_delay_alu instid0(VALU_DEP_1) | instskip(NEXT) | instid1(VALU_DEP_1)
	v_lshlrev_b64_e32 v[20:21], 3, v[20:21]
	v_add_co_u32 v20, vcc_lo, s2, v20
	s_wait_alu 0xfffd
	s_delay_alu instid0(VALU_DEP_2)
	v_add_co_ci_u32_e32 v21, vcc_lo, s3, v21, vcc_lo
	global_load_b64 v[20:21], v[20:21], off
.LBB0_22:
	s_wait_alu 0xfffe
	s_or_b32 exec_lo, exec_lo, s7
	v_dual_mov_b32 v25, 0 :: v_dual_mov_b32 v26, 0
	v_mov_b32_e32 v27, 0
	s_and_saveexec_b32 s7, s5
	s_cbranch_execz .LBB0_24
; %bb.23:
	v_dual_mov_b32 v27, 0 :: v_dual_add_nc_u32 v2, 40, v36
	s_delay_alu instid0(VALU_DEP_1) | instskip(NEXT) | instid1(VALU_DEP_1)
	v_mul_lo_u32 v2, s4, v2
	v_add3_u32 v26, s6, v1, v2
	s_delay_alu instid0(VALU_DEP_1) | instskip(NEXT) | instid1(VALU_DEP_1)
	v_lshlrev_b64_e32 v[26:27], 3, v[26:27]
	v_add_co_u32 v26, vcc_lo, s2, v26
	s_wait_alu 0xfffd
	s_delay_alu instid0(VALU_DEP_2)
	v_add_co_ci_u32_e32 v27, vcc_lo, s3, v27, vcc_lo
	global_load_b64 v[26:27], v[26:27], off
.LBB0_24:
	s_wait_alu 0xfffe
	s_or_b32 exec_lo, exec_lo, s7
	v_mov_b32_e32 v24, 0
	s_and_saveexec_b32 s7, s5
	s_cbranch_execz .LBB0_26
; %bb.25:
	v_dual_mov_b32 v25, 0 :: v_dual_add_nc_u32 v2, 56, v36
	s_delay_alu instid0(VALU_DEP_1) | instskip(NEXT) | instid1(VALU_DEP_1)
	v_mul_lo_u32 v2, s4, v2
	v_add3_u32 v24, s6, v1, v2
	s_delay_alu instid0(VALU_DEP_1) | instskip(NEXT) | instid1(VALU_DEP_1)
	v_lshlrev_b64_e32 v[24:25], 3, v[24:25]
	v_add_co_u32 v24, vcc_lo, s2, v24
	s_wait_alu 0xfffd
	s_delay_alu instid0(VALU_DEP_2)
	v_add_co_ci_u32_e32 v25, vcc_lo, s3, v25, vcc_lo
	global_load_b64 v[24:25], v[24:25], off
.LBB0_26:
	s_wait_alu 0xfffe
	s_or_b32 exec_lo, exec_lo, s7
	v_dual_mov_b32 v30, 0 :: v_dual_add_nc_u32 v39, 12, v36
	v_mov_b32_e32 v29, 0
	v_mov_b32_e32 v31, 0
	s_and_saveexec_b32 s7, s5
	s_cbranch_execz .LBB0_28
; %bb.27:
	v_mul_lo_u32 v2, s4, v39
	v_mov_b32_e32 v31, 0
	s_delay_alu instid0(VALU_DEP_2) | instskip(NEXT) | instid1(VALU_DEP_1)
	v_add3_u32 v30, s6, v1, v2
	v_lshlrev_b64_e32 v[30:31], 3, v[30:31]
	s_delay_alu instid0(VALU_DEP_1) | instskip(SKIP_1) | instid1(VALU_DEP_2)
	v_add_co_u32 v30, vcc_lo, s2, v30
	s_wait_alu 0xfffd
	v_add_co_ci_u32_e32 v31, vcc_lo, s3, v31, vcc_lo
	global_load_b64 v[30:31], v[30:31], off
.LBB0_28:
	s_wait_alu 0xfffe
	s_or_b32 exec_lo, exec_lo, s7
	v_mov_b32_e32 v28, 0
	s_and_saveexec_b32 s7, s5
	s_cbranch_execz .LBB0_30
; %bb.29:
	v_dual_mov_b32 v29, 0 :: v_dual_add_nc_u32 v2, 28, v36
	s_delay_alu instid0(VALU_DEP_1) | instskip(NEXT) | instid1(VALU_DEP_1)
	v_mul_lo_u32 v2, s4, v2
	v_add3_u32 v28, s6, v1, v2
	s_delay_alu instid0(VALU_DEP_1) | instskip(NEXT) | instid1(VALU_DEP_1)
	v_lshlrev_b64_e32 v[28:29], 3, v[28:29]
	v_add_co_u32 v28, vcc_lo, s2, v28
	s_wait_alu 0xfffd
	s_delay_alu instid0(VALU_DEP_2)
	v_add_co_ci_u32_e32 v29, vcc_lo, s3, v29, vcc_lo
	global_load_b64 v[28:29], v[28:29], off
.LBB0_30:
	s_wait_alu 0xfffe
	s_or_b32 exec_lo, exec_lo, s7
	s_load_b64 s[8:9], s[0:1], 0x0
	v_dual_mov_b32 v33, 0 :: v_dual_mov_b32 v34, 0
	v_mov_b32_e32 v35, 0
	s_and_saveexec_b32 s7, s5
	s_cbranch_execz .LBB0_32
; %bb.31:
	v_dual_mov_b32 v35, 0 :: v_dual_add_nc_u32 v2, 44, v36
	s_delay_alu instid0(VALU_DEP_1) | instskip(NEXT) | instid1(VALU_DEP_1)
	v_mul_lo_u32 v2, s4, v2
	v_add3_u32 v34, s6, v1, v2
	s_delay_alu instid0(VALU_DEP_1) | instskip(NEXT) | instid1(VALU_DEP_1)
	v_lshlrev_b64_e32 v[34:35], 3, v[34:35]
	v_add_co_u32 v34, vcc_lo, s2, v34
	s_wait_alu 0xfffd
	s_delay_alu instid0(VALU_DEP_2)
	v_add_co_ci_u32_e32 v35, vcc_lo, s3, v35, vcc_lo
	global_load_b64 v[34:35], v[34:35], off
.LBB0_32:
	s_wait_alu 0xfffe
	s_or_b32 exec_lo, exec_lo, s7
	v_mov_b32_e32 v32, 0
	s_and_saveexec_b32 s7, s5
	s_cbranch_execz .LBB0_34
; %bb.33:
	v_dual_mov_b32 v33, 0 :: v_dual_add_nc_u32 v2, 60, v36
	s_delay_alu instid0(VALU_DEP_1) | instskip(NEXT) | instid1(VALU_DEP_1)
	v_mul_lo_u32 v2, s4, v2
	v_add3_u32 v32, s6, v1, v2
	s_delay_alu instid0(VALU_DEP_1) | instskip(NEXT) | instid1(VALU_DEP_1)
	v_lshlrev_b64_e32 v[32:33], 3, v[32:33]
	v_add_co_u32 v32, vcc_lo, s2, v32
	s_wait_alu 0xfffd
	s_delay_alu instid0(VALU_DEP_2)
	v_add_co_ci_u32_e32 v33, vcc_lo, s3, v33, vcc_lo
	global_load_b64 v[32:33], v[32:33], off
.LBB0_34:
	s_wait_alu 0xfffe
	s_or_b32 exec_lo, exec_lo, s7
	s_wait_loadcnt 0x0
	v_dual_sub_f32 v2, v6, v10 :: v_dual_sub_f32 v9, v5, v9
	v_sub_f32_e32 v8, v4, v8
	v_dual_sub_f32 v10, v7, v11 :: v_dual_sub_f32 v17, v13, v17
	v_dual_sub_f32 v11, v14, v18 :: v_dual_sub_f32 v18, v15, v19
	s_delay_alu instid0(VALU_DEP_4) | instskip(SKIP_1) | instid1(VALU_DEP_4)
	v_fma_f32 v5, v5, 2.0, -v9
	v_sub_f32_e32 v9, v2, v9
	v_fma_f32 v13, v13, 2.0, -v17
	v_sub_f32_e32 v16, v12, v16
	v_fma_f32 v15, v15, 2.0, -v18
	v_add_f32_e32 v41, v10, v8
	v_fma_f32 v14, v14, 2.0, -v11
	v_fma_f32 v4, v4, 2.0, -v8
	;; [unrolled: 1-line block ×3, first 2 shown]
	v_sub_f32_e32 v42, v15, v13
	v_fma_f32 v43, v10, 2.0, -v41
	v_fma_f32 v6, v6, 2.0, -v2
	;; [unrolled: 1-line block ×3, first 2 shown]
	v_sub_f32_e32 v13, v20, v24
	v_fma_f32 v44, v15, 2.0, -v42
	v_sub_f32_e32 v15, v23, v27
	v_fma_f32 v12, v12, 2.0, -v16
	v_add_f32_e32 v16, v18, v16
	v_fma_f32 v20, v20, 2.0, -v13
	v_dual_sub_f32 v4, v6, v4 :: v_dual_sub_f32 v5, v7, v5
	s_delay_alu instid0(VALU_DEP_4) | instskip(SKIP_1) | instid1(VALU_DEP_3)
	v_sub_f32_e32 v8, v14, v12
	v_dual_sub_f32 v12, v22, v26 :: v_dual_lshlrev_b32 v45, 2, v40
	v_fma_f32 v6, v6, 2.0, -v4
	s_delay_alu instid0(VALU_DEP_4) | instskip(NEXT) | instid1(VALU_DEP_4)
	v_fma_f32 v7, v7, 2.0, -v5
	v_fma_f32 v10, v14, 2.0, -v8
	v_sub_f32_e32 v14, v11, v17
	v_sub_f32_e32 v17, v21, v25
	v_fma_f32 v19, v22, 2.0, -v12
	v_fma_f32 v22, v23, 2.0, -v15
	v_sub_f32_e32 v23, v31, v35
	v_fma_f32 v26, v18, 2.0, -v16
	v_fma_f32 v21, v21, 2.0, -v17
	v_sub_f32_e32 v20, v19, v20
	v_dual_sub_f32 v18, v30, v34 :: v_dual_sub_f32 v25, v29, v33
	v_sub_f32_e32 v17, v12, v17
	s_delay_alu instid0(VALU_DEP_4) | instskip(SKIP_1) | instid1(VALU_DEP_4)
	v_sub_f32_e32 v27, v22, v21
	v_sub_f32_e32 v21, v28, v32
	v_fma_f32 v24, v30, 2.0, -v18
	v_add_f32_e32 v30, v15, v13
	v_fma_f32 v13, v31, 2.0, -v23
	v_fma_f32 v29, v29, 2.0, -v25
	;; [unrolled: 1-line block ×4, first 2 shown]
	v_sub_f32_e32 v22, v18, v25
	v_fma_f32 v32, v15, 2.0, -v30
	s_delay_alu instid0(VALU_DEP_4) | instskip(SKIP_2) | instid1(VALU_DEP_3)
	v_dual_sub_f32 v29, v13, v29 :: v_dual_sub_f32 v28, v24, v28
	v_dual_add_f32 v34, v23, v21 :: v_dual_lshlrev_b32 v21, 8, v38
	v_fma_f32 v11, v11, 2.0, -v14
	v_fma_f32 v33, v13, 2.0, -v29
	s_delay_alu instid0(VALU_DEP_4)
	v_fma_f32 v15, v24, 2.0, -v28
	v_lshlrev_b32_e32 v24, 8, v36
	v_fma_f32 v13, v18, 2.0, -v22
	v_lshlrev_b32_e32 v18, 8, v37
	;; [unrolled: 2-line block ×3, first 2 shown]
	v_add3_u32 v35, 0, v24, v45
	v_fma_f32 v19, v19, 2.0, -v20
	v_add3_u32 v46, 0, v18, v45
	v_fma_f32 v12, v12, 2.0, -v17
	ds_store_2addr_b32 v35, v6, v2 offset1:16
	v_add3_u32 v2, 0, v21, v45
	ds_store_2addr_b32 v35, v4, v9 offset0:32 offset1:48
	v_add3_u32 v4, 0, v23, v45
	ds_store_2addr_b32 v46, v10, v11 offset1:16
	ds_store_2addr_b32 v46, v8, v14 offset0:32 offset1:48
	ds_store_2addr_b32 v2, v19, v12 offset1:16
	ds_store_2addr_b32 v2, v20, v17 offset0:32 offset1:48
	;; [unrolled: 2-line block ×3, first 2 shown]
	v_mad_i32_i24 v20, 0xffffff40, v36, v35
	v_bfe_u32 v28, v0, 4, 2
	v_mad_i32_i24 v18, 0xffffff40, v38, v2
	v_mad_i32_i24 v19, 0xffffff40, v39, v4
	global_wb scope:SCOPE_SE
	s_wait_dscnt 0x0
	s_wait_kmcnt 0x0
	s_barrier_signal -1
	s_barrier_wait -1
	global_inv scope:SCOPE_SE
	ds_load_2addr_stride64_b32 v[8:9], v20 offset1:4
	v_mad_i32_i24 v21, 0xffffff40, v37, v46
	ds_load_2addr_stride64_b32 v[10:11], v20 offset0:11 offset1:12
	ds_load_2addr_stride64_b32 v[12:13], v20 offset0:9 offset1:10
	;; [unrolled: 1-line block ×5, first 2 shown]
	ds_load_b32 v47, v18
	ds_load_b32 v48, v19
	;; [unrolled: 1-line block ×3, first 2 shown]
	ds_load_b32 v50, v20 offset:3840
	global_wb scope:SCOPE_SE
	s_wait_dscnt 0x0
	s_barrier_signal -1
	s_barrier_wait -1
	global_inv scope:SCOPE_SE
	ds_store_2addr_b32 v35, v7, v43 offset1:16
	ds_store_2addr_b32 v35, v5, v41 offset0:32 offset1:48
	ds_store_2addr_b32 v46, v44, v26 offset1:16
	ds_store_2addr_b32 v46, v42, v16 offset0:32 offset1:48
	v_mul_u32_u24_e32 v5, 3, v28
	ds_store_2addr_b32 v2, v31, v32 offset1:16
	ds_store_2addr_b32 v2, v27, v30 offset0:32 offset1:48
	ds_store_2addr_b32 v4, v33, v40 offset1:16
	ds_store_2addr_b32 v4, v29, v34 offset0:32 offset1:48
	global_wb scope:SCOPE_SE
	s_wait_dscnt 0x0
	s_barrier_signal -1
	s_barrier_wait -1
	v_lshlrev_b32_e32 v2, 3, v5
	global_inv scope:SCOPE_SE
	s_clause 0x1
	global_load_b128 v[4:7], v2, s[8:9]
	global_load_b64 v[26:27], v2, s[8:9] offset:16
	v_lshlrev_b32_e32 v17, 2, v37
	v_lshlrev_b32_e32 v16, 2, v38
	;; [unrolled: 1-line block ×3, first 2 shown]
	s_delay_alu instid0(VALU_DEP_3) | instskip(NEXT) | instid1(VALU_DEP_1)
	v_and_or_b32 v30, 0x1f0, v17, v28
	v_lshlrev_b32_e32 v43, 6, v30
	s_wait_loadcnt 0x1
	v_mul_f32_e32 v57, v9, v5
	v_and_or_b32 v31, 0x1f0, v16, v28
	v_mul_f32_e32 v63, v22, v5
	v_and_or_b32 v32, 0x1f0, v2, v28
	v_mul_f32_e32 v65, v12, v7
	s_wait_loadcnt 0x0
	v_mul_f32_e32 v67, v24, v27
	v_dual_mul_f32 v69, v23, v5 :: v_dual_lshlrev_b32 v44, 6, v31
	ds_load_2addr_stride64_b32 v[30:31], v20 offset0:7 offset1:8
	v_lshlrev_b32_e32 v29, 2, v36
	v_lshlrev_b32_e32 v46, 6, v32
	v_add3_u32 v44, 0, v44, v45
	v_mul_f32_e32 v61, v11, v27
	v_mul_f32_e32 v73, v25, v27
	;; [unrolled: 1-line block ×3, first 2 shown]
	s_wait_dscnt 0x0
	v_dual_mul_f32 v71, v13, v7 :: v_dual_mul_f32 v74, v30, v5
	v_mul_f32_e32 v58, v31, v7
	v_and_or_b32 v29, 0xf0, v29, v28
	v_fmac_f32_e32 v59, v31, v6
	s_delay_alu instid0(VALU_DEP_3) | instskip(NEXT) | instid1(VALU_DEP_3)
	v_fma_f32 v15, v15, v6, -v58
	v_lshlrev_b32_e32 v42, 6, v29
	ds_load_2addr_stride64_b32 v[28:29], v20 offset1:4
	ds_load_2addr_stride64_b32 v[32:33], v20 offset0:11 offset1:12
	ds_load_2addr_stride64_b32 v[34:35], v20 offset0:9 offset1:10
	;; [unrolled: 1-line block ×3, first 2 shown]
	v_add3_u32 v51, 0, v42, v45
	s_wait_dscnt 0x2
	v_mul_f32_e32 v60, v33, v27
	v_mul_f32_e32 v56, v29, v5
	v_add3_u32 v52, 0, v43, v45
	ds_load_2addr_stride64_b32 v[42:43], v20 offset0:13 offset1:14
	v_add3_u32 v45, 0, v46, v45
	ds_load_b32 v46, v18
	ds_load_b32 v53, v19
	;; [unrolled: 1-line block ×3, first 2 shown]
	ds_load_b32 v55, v20 offset:3840
	s_wait_dscnt 0x5
	v_mul_f32_e32 v62, v40, v5
	v_dual_mul_f32 v68, v41, v5 :: v_dual_mul_f32 v75, v32, v7
	v_dual_mul_f32 v70, v35, v7 :: v_dual_mul_f32 v5, v14, v5
	v_fma_f32 v9, v9, v4, -v56
	v_fma_f32 v11, v11, v26, -v60
	v_dual_mul_f32 v64, v34, v7 :: v_dual_fmac_f32 v57, v29, v4
	v_fmac_f32_e32 v61, v33, v26
	v_mul_f32_e32 v7, v10, v7
	v_fma_f32 v22, v22, v4, -v62
	v_fmac_f32_e32 v63, v40, v4
	v_fma_f32 v23, v23, v4, -v68
	v_fmac_f32_e32 v69, v41, v4
	v_fma_f32 v13, v13, v6, -v70
	v_fma_f32 v14, v14, v4, -v74
	s_wait_dscnt 0x4
	v_mul_f32_e32 v66, v42, v27
	v_mul_f32_e32 v72, v43, v27
	s_wait_dscnt 0x0
	v_mul_f32_e32 v76, v55, v27
	v_sub_f32_e32 v11, v9, v11
	v_fmac_f32_e32 v5, v30, v4
	v_fma_f32 v4, v10, v6, -v75
	v_fmac_f32_e32 v73, v43, v26
	v_fma_f32 v12, v12, v6, -v64
	v_mul_f32_e32 v27, v50, v27
	v_dual_fmac_f32 v65, v34, v6 :: v_dual_sub_f32 v10, v8, v15
	v_fma_f32 v24, v24, v26, -v66
	v_fmac_f32_e32 v71, v35, v6
	v_fma_f32 v25, v25, v26, -v72
	v_sub_f32_e32 v13, v47, v13
	v_fmac_f32_e32 v7, v32, v6
	v_fma_f32 v6, v50, v26, -v76
	v_dual_sub_f32 v4, v48, v4 :: v_dual_fmac_f32 v67, v42, v26
	v_dual_sub_f32 v32, v69, v73 :: v_dual_sub_f32 v15, v28, v59
	s_delay_alu instid0(VALU_DEP_3)
	v_sub_f32_e32 v6, v14, v6
	v_sub_f32_e32 v12, v49, v12
	;; [unrolled: 1-line block ×6, first 2 shown]
	v_fma_f32 v8, v8, 2.0, -v10
	v_fma_f32 v9, v9, 2.0, -v11
	v_dual_fmac_f32 v27, v55, v26 :: v_dual_sub_f32 v26, v57, v61
	v_fma_f32 v43, v69, 2.0, -v32
	v_sub_f32_e32 v32, v13, v32
	v_sub_f32_e32 v33, v53, v7
	v_dual_sub_f32 v29, v54, v65 :: v_dual_add_f32 v34, v15, v11
	v_fma_f32 v11, v49, 2.0, -v12
	v_fma_f32 v22, v22, 2.0, -v24
	;; [unrolled: 1-line block ×4, first 2 shown]
	v_add_f32_e32 v46, v31, v25
	v_fma_f32 v25, v48, 2.0, -v4
	v_fma_f32 v14, v14, 2.0, -v6
	v_add_f32_e32 v48, v33, v6
	v_dual_sub_f32 v6, v8, v9 :: v_dual_sub_f32 v7, v5, v27
	v_fma_f32 v27, v28, 2.0, -v15
	v_fma_f32 v28, v57, 2.0, -v26
	v_sub_f32_e32 v26, v10, v26
	v_fma_f32 v40, v63, 2.0, -v30
	v_sub_f32_e32 v30, v12, v30
	v_fma_f32 v35, v54, 2.0, -v29
	v_fma_f32 v49, v15, 2.0, -v34
	;; [unrolled: 1-line block ×3, first 2 shown]
	v_sub_f32_e32 v10, v11, v22
	v_fma_f32 v5, v5, 2.0, -v7
	v_add_f32_e32 v41, v29, v24
	v_fma_f32 v24, v47, 2.0, -v13
	v_fma_f32 v47, v53, 2.0, -v33
	v_dual_sub_f32 v7, v4, v7 :: v_dual_sub_f32 v22, v35, v40
	s_delay_alu instid0(VALU_DEP_3) | instskip(SKIP_1) | instid1(VALU_DEP_4)
	v_dual_sub_f32 v14, v25, v14 :: v_dual_sub_f32 v15, v24, v23
	v_sub_f32_e32 v28, v27, v28
	v_sub_f32_e32 v40, v47, v5
	v_fma_f32 v5, v8, 2.0, -v6
	v_fma_f32 v12, v12, 2.0, -v30
	;; [unrolled: 1-line block ×7, first 2 shown]
	global_wb scope:SCOPE_SE
	s_barrier_signal -1
	s_barrier_wait -1
	global_inv scope:SCOPE_SE
	v_sub_f32_e32 v23, v42, v43
	v_fma_f32 v43, v27, 2.0, -v28
	ds_store_2addr_stride64_b32 v51, v5, v9 offset1:1
	ds_store_2addr_stride64_b32 v51, v6, v26 offset0:2 offset1:3
	ds_store_2addr_stride64_b32 v52, v8, v12 offset1:1
	ds_store_2addr_stride64_b32 v52, v10, v30 offset0:2 offset1:3
	;; [unrolled: 2-line block ×4, first 2 shown]
	global_wb scope:SCOPE_SE
	s_wait_dscnt 0x0
	s_barrier_signal -1
	s_barrier_wait -1
	global_inv scope:SCOPE_SE
	ds_load_2addr_stride64_b32 v[4:5], v20 offset1:4
	ds_load_2addr_stride64_b32 v[6:7], v20 offset0:11 offset1:12
	ds_load_2addr_stride64_b32 v[12:13], v20 offset0:9 offset1:10
	;; [unrolled: 1-line block ×5, first 2 shown]
	ds_load_b32 v25, v18
	ds_load_b32 v26, v19
	;; [unrolled: 1-line block ×3, first 2 shown]
	ds_load_b32 v27, v20 offset:3840
	v_fma_f32 v29, v29, 2.0, -v41
	v_fma_f32 v35, v35, 2.0, -v22
	;; [unrolled: 1-line block ×6, first 2 shown]
	global_wb scope:SCOPE_SE
	s_wait_dscnt 0x0
	s_barrier_signal -1
	s_barrier_wait -1
	global_inv scope:SCOPE_SE
	ds_store_2addr_stride64_b32 v51, v43, v49 offset1:1
	ds_store_2addr_stride64_b32 v51, v28, v34 offset0:2 offset1:3
	ds_store_2addr_stride64_b32 v52, v35, v29 offset1:1
	ds_store_2addr_stride64_b32 v52, v22, v41 offset0:2 offset1:3
	;; [unrolled: 2-line block ×4, first 2 shown]
	global_wb scope:SCOPE_SE
	s_wait_dscnt 0x0
	s_barrier_signal -1
	s_barrier_wait -1
	global_inv scope:SCOPE_SE
	s_and_saveexec_b32 s7, s5
	s_cbranch_execz .LBB0_36
; %bb.35:
	v_and_b32_e32 v22, 15, v38
	v_and_b32_e32 v28, 15, v37
	v_bfe_u32 v85, v0, 4, 4
	v_or_b32_e32 v36, 48, v36
	s_load_b64 s[0:1], s[0:1], 0x8
	v_mul_u32_u24_e32 v23, 3, v22
	v_mul_u32_u24_e32 v29, 3, v28
	v_or_b32_e32 v65, 48, v22
	v_or_b32_e32 v66, 32, v22
	v_lshrrev_b32_e32 v0, 2, v0
	v_lshlrev_b32_e32 v33, 3, v23
	v_lshlrev_b32_e32 v35, 3, v29
	v_mul_lo_u32 v65, v3, v65
	v_mul_lo_u32 v68, v3, v66
	s_clause 0x1
	global_load_b128 v[29:32], v33, s[8:9] offset:96
	global_load_b128 v[40:43], v35, s[8:9] offset:96
	v_and_b32_e32 v71, 0xff, v65
	v_lshrrev_b32_e32 v72, 5, v65
	v_lshrrev_b32_e32 v74, 5, v68
	s_wait_loadcnt 0x1
	v_mul_f32_e32 v86, v13, v32
	s_wait_loadcnt 0x0
	v_mul_f32_e32 v88, v12, v43
	v_and_b32_e32 v23, 15, v39
	v_mul_lo_u32 v39, v3, v36
	v_mul_f32_e32 v87, v15, v30
	s_delay_alu instid0(VALU_DEP_3)
	v_mul_u32_u24_e32 v34, 3, v23
	v_or_b32_e32 v52, 48, v23
	v_or_b32_e32 v54, 32, v23
	v_mul_lo_u32 v64, v3, v23
	v_and_b32_e32 v53, 0xff, v39
	v_lshlrev_b32_e32 v84, 3, v34
	s_clause 0x2
	global_load_b128 v[44:47], v84, s[8:9] offset:96
	global_load_b64 v[33:34], v33, s[8:9] offset:112
	global_load_b64 v[37:38], v35, s[8:9] offset:112
	v_mul_u32_u24_e32 v35, 3, v85
	v_lshrrev_b32_e32 v39, 5, v39
	v_mul_lo_u32 v52, v3, v52
	v_lshlrev_b32_e32 v53, 3, v53
	v_mul_lo_u32 v56, v3, v54
	v_lshlrev_b32_e32 v35, 3, v35
	v_and_b32_e32 v39, 0x7f8, v39
	v_and_b32_e32 v66, 0xff, v64
	v_lshrrev_b32_e32 v69, 5, v64
	v_and_b32_e32 v73, 0xff, v68
	s_clause 0x1
	global_load_b128 v[48:51], v35, s[8:9] offset:96
	global_load_b64 v[35:36], v35, s[8:9] offset:112
	v_and_b32_e32 v57, 0xff, v52
	v_lshrrev_b32_e32 v58, 5, v52
	v_and_b32_e32 v60, 0xff, v56
	v_lshrrev_b32_e32 v61, 5, v56
	v_lshlrev_b32_e32 v77, 3, v73
	v_lshlrev_b32_e32 v57, 3, v57
	v_and_b32_e32 v58, 0x7f8, v58
	v_lshlrev_b32_e32 v60, 3, v60
	v_and_b32_e32 v62, 0x7f8, v61
	s_wait_loadcnt 0x4
	v_mul_f32_e32 v92, v8, v45
	s_wait_kmcnt 0x0
	s_clause 0x1
	global_load_b64 v[52:53], v53, s[0:1]
	global_load_b64 v[54:55], v39, s[0:1] offset:2048
	v_or_b32_e32 v39, 16, v23
	s_wait_loadcnt 0x5
	v_mul_f32_e32 v95, v11, v34
	v_lshlrev_b32_e32 v70, 3, v66
	s_clause 0x3
	global_load_b64 v[56:57], v57, s[0:1]
	global_load_b64 v[58:59], v58, s[0:1] offset:2048
	global_load_b64 v[60:61], v60, s[0:1]
	global_load_b64 v[62:63], v62, s[0:1] offset:2048
	v_mul_lo_u32 v39, v3, v39
	s_wait_loadcnt 0x8
	v_dual_mul_f32 v97, v10, v38 :: v_dual_and_b32 v76, 0x7f8, v72
	s_wait_loadcnt 0x7
	v_mul_f32_e32 v98, v9, v51
	v_lshlrev_b32_e32 v75, 3, v71
	s_delay_alu instid0(VALU_DEP_4) | instskip(SKIP_1) | instid1(VALU_DEP_2)
	v_and_b32_e32 v67, 0xff, v39
	v_lshrrev_b32_e32 v39, 5, v39
	v_dual_mul_f32 v99, v5, v49 :: v_dual_lshlrev_b32 v64, 3, v67
	s_delay_alu instid0(VALU_DEP_2)
	v_and_b32_e32 v39, 0x7f8, v39
	s_clause 0x1
	global_load_b64 v[64:65], v64, s[0:1]
	global_load_b64 v[66:67], v39, s[0:1] offset:2048
	v_and_b32_e32 v39, 0x7f8, v69
	s_clause 0x1
	global_load_b64 v[68:69], v70, s[0:1]
	global_load_b64 v[70:71], v39, s[0:1] offset:2048
	;; [unrolled: 4-line block ×3, first 2 shown]
	global_load_b64 v[76:77], v77, s[0:1]
	global_load_b64 v[78:79], v39, s[0:1] offset:2048
	ds_load_2addr_stride64_b32 v[80:81], v20 offset0:9 offset1:10
	ds_load_2addr_stride64_b32 v[82:83], v20 offset0:5 offset1:6
	ds_load_b32 v91, v21
	s_wait_dscnt 0x1
	v_dual_mul_f32 v32, v81, v32 :: v_dual_mul_f32 v39, v83, v30
	v_dual_fmac_f32 v86, v81, v31 :: v_dual_fmac_f32 v87, v83, v29
	v_fmac_f32_e32 v88, v80, v42
	s_delay_alu instid0(VALU_DEP_3)
	v_fma_f32 v89, v13, v31, -v32
	v_mul_f32_e32 v13, v82, v41
	v_fma_f32 v81, v15, v29, -v39
	ds_load_2addr_stride64_b32 v[29:30], v20 offset0:7 offset1:8
	v_dual_mul_f32 v31, v80, v43 :: v_dual_mul_f32 v80, v14, v41
	v_fma_f32 v83, v14, v40, -v13
	ds_load_2addr_stride64_b32 v[13:14], v20 offset0:11 offset1:12
	v_or_b32_e32 v15, 16, v22
	v_fma_f32 v90, v12, v42, -v31
	ds_load_2addr_stride64_b32 v[31:32], v20 offset0:13 offset1:14
	v_fmac_f32_e32 v80, v82, v40
	v_mul_f32_e32 v82, v6, v47
	v_mul_lo_u32 v15, v3, v15
	s_delay_alu instid0(VALU_DEP_1)
	v_and_b32_e32 v12, 0xff, v15
	v_lshrrev_b32_e32 v15, 5, v15
	s_wait_dscnt 0x2
	v_mul_f32_e32 v21, v29, v45
	v_fmac_f32_e32 v92, v29, v44
	v_fmac_f32_e32 v98, v30, v50
	s_wait_dscnt 0x1
	v_dual_mul_f32 v39, v13, v47 :: v_dual_lshlrev_b32 v12, 3, v12
	v_dual_fmac_f32 v82, v13, v46 :: v_dual_and_b32 v15, 0x7f8, v15
	s_wait_dscnt 0x0
	v_fmac_f32_e32 v95, v32, v33
	v_fma_f32 v93, v8, v44, -v21
	v_fma_f32 v94, v6, v46, -v39
	s_clause 0x1
	global_load_b64 v[12:13], v12, s[0:1]
	global_load_b64 v[39:40], v15, s[0:1] offset:2048
	v_mul_f32_e32 v6, v32, v34
	v_mul_lo_u32 v8, v3, v22
	v_fmac_f32_e32 v97, v31, v37
	v_or_b32_e32 v15, 32, v28
	v_mul_lo_u32 v21, v3, v28
	v_fma_f32 v96, v11, v33, -v6
	global_load_b64 v[32:33], v84, s[8:9] offset:112
	v_mul_f32_e32 v6, v31, v38
	v_mul_lo_u32 v15, v3, v15
	s_delay_alu instid0(VALU_DEP_2) | instskip(SKIP_2) | instid1(VALU_DEP_2)
	v_fma_f32 v84, v10, v37, -v6
	v_and_b32_e32 v6, 0xff, v8
	v_lshrrev_b32_e32 v8, 5, v8
	v_lshlrev_b32_e32 v6, 3, v6
	s_delay_alu instid0(VALU_DEP_2)
	v_and_b32_e32 v8, 0x7f8, v8
	s_clause 0x1
	global_load_b64 v[10:11], v6, s[0:1]
	global_load_b64 v[37:38], v8, s[0:1] offset:2048
	v_mul_f32_e32 v6, v30, v51
	ds_load_2addr_stride64_b32 v[29:30], v20 offset1:4
	s_wait_loadcnt 0x13
	v_mul_f32_e32 v8, v14, v36
	v_mul_f32_e32 v36, v7, v36
	v_fma_f32 v51, v9, v50, -v6
	s_delay_alu instid0(VALU_DEP_3) | instskip(SKIP_3) | instid1(VALU_DEP_2)
	v_fma_f32 v101, v7, v35, -v8
	s_wait_dscnt 0x0
	v_mul_f32_e32 v6, v30, v49
	v_fmac_f32_e32 v99, v30, v48
	v_fma_f32 v100, v5, v48, -v6
	v_or_b32_e32 v5, 32, v85
	s_delay_alu instid0(VALU_DEP_1) | instskip(NEXT) | instid1(VALU_DEP_1)
	v_mul_lo_u32 v5, v3, v5
	v_and_b32_e32 v6, 0xff, v5
	v_lshrrev_b32_e32 v5, 5, v5
	s_delay_alu instid0(VALU_DEP_2) | instskip(NEXT) | instid1(VALU_DEP_2)
	v_lshlrev_b32_e32 v6, 3, v6
	v_and_b32_e32 v9, 0x7f8, v5
	s_wait_loadcnt 0xd
	v_mul_f32_e32 v31, v61, v63
	s_clause 0x1
	global_load_b64 v[5:6], v6, s[0:1]
	global_load_b64 v[7:8], v9, s[0:1] offset:2048
	v_mul_f32_e32 v9, v53, v55
	v_mul_f32_e32 v55, v52, v55
	s_delay_alu instid0(VALU_DEP_2) | instskip(SKIP_1) | instid1(VALU_DEP_3)
	v_fma_f32 v52, v52, v54, -v9
	v_or_b32_e32 v9, 16, v28
	v_fmac_f32_e32 v55, v53, v54
	v_mul_f32_e32 v53, v56, v59
	v_fmac_f32_e32 v36, v14, v35
	v_or_b32_e32 v14, 48, v28
	v_mul_lo_u32 v9, v3, v9
	v_mul_f32_e32 v30, v57, v59
	v_fmac_f32_e32 v53, v57, v58
	v_fma_f32 v57, v60, v62, -v31
	v_mul_lo_u32 v14, v3, v14
	v_and_b32_e32 v31, 0xff, v15
	v_lshrrev_b32_e32 v15, 5, v15
	v_dual_sub_f32 v36, v99, v36 :: v_dual_and_b32 v35, 0xff, v9
	v_fma_f32 v54, v56, v58, -v30
	v_and_b32_e32 v30, 0xff, v21
	v_lshrrev_b32_e32 v21, 5, v21
	v_and_b32_e32 v34, 0xff, v14
	v_lshrrev_b32_e32 v14, 5, v14
	v_lshlrev_b32_e32 v43, 3, v35
	s_wait_loadcnt 0x9
	v_mul_f32_e32 v35, v73, v75
	v_dual_mul_f32 v56, v60, v63 :: v_dual_lshlrev_b32 v47, 3, v30
	v_lshrrev_b32_e32 v9, 5, v9
	v_dual_mul_f32 v58, v64, v67 :: v_dual_and_b32 v21, 0x7f8, v21
	s_delay_alu instid0(VALU_DEP_3)
	v_dual_fmac_f32 v56, v61, v62 :: v_dual_mul_f32 v61, v72, v75
	s_wait_loadcnt 0x7
	v_dual_mul_f32 v63, v76, v79 :: v_dual_lshlrev_b32 v30, 3, v34
	v_and_b32_e32 v34, 0x7f8, v14
	v_mul_f32_e32 v14, v65, v67
	v_dual_mul_f32 v60, v68, v71 :: v_dual_and_b32 v9, 0x7f8, v9
	s_delay_alu instid0(VALU_DEP_4) | instskip(SKIP_1) | instid1(VALU_DEP_4)
	v_fmac_f32_e32 v63, v77, v78
	v_dual_fmac_f32 v58, v65, v66 :: v_dual_lshlrev_b32 v41, 3, v31
	v_fma_f32 v59, v64, v66, -v14
	v_mul_f32_e32 v14, v69, v71
	v_mul_f32_e32 v44, v77, v79
	v_dual_fmac_f32 v61, v73, v74 :: v_dual_and_b32 v42, 0x7f8, v15
	v_fmac_f32_e32 v60, v69, v70
	s_delay_alu instid0(VALU_DEP_4)
	v_fma_f32 v62, v68, v70, -v14
	s_clause 0x1
	global_load_b64 v[14:15], v30, s[0:1]
	global_load_b64 v[30:31], v34, s[0:1] offset:2048
	v_fma_f32 v64, v72, v74, -v35
	s_clause 0x1
	global_load_b64 v[34:35], v41, s[0:1]
	global_load_b64 v[41:42], v42, s[0:1] offset:2048
	;; [unrolled: 4-line block ×3, first 2 shown]
	global_load_b64 v[47:48], v47, s[0:1]
	global_load_b64 v[49:50], v21, s[0:1] offset:2048
	ds_load_b32 v66, v20 offset:3840
	v_and_or_b32 v68, 0xc0, v0, v85
	v_sub_f32_e32 v51, v4, v51
	v_dual_sub_f32 v69, v25, v89 :: v_dual_sub_f32 v70, v87, v95
	v_dual_sub_f32 v71, v91, v88 :: v_dual_sub_f32 v74, v80, v97
	;; [unrolled: 1-line block ×4, first 2 shown]
	s_delay_alu instid0(VALU_DEP_4) | instskip(NEXT) | instid1(VALU_DEP_3)
	v_fma_f32 v84, v25, 2.0, -v69
	v_fma_f32 v24, v24, 2.0, -v73
	s_wait_loadcnt 0xd
	v_mul_f32_e32 v9, v13, v40
	v_mul_f32_e32 v40, v12, v40
	s_delay_alu instid0(VALU_DEP_2) | instskip(SKIP_2) | instid1(VALU_DEP_3)
	v_fma_f32 v67, v12, v39, -v9
	v_or_b32_e32 v9, 16, v85
	s_wait_loadcnt_dscnt 0xc00
	v_dual_fmac_f32 v40, v13, v39 :: v_dual_mul_f32 v13, v66, v33
	s_delay_alu instid0(VALU_DEP_2) | instskip(SKIP_1) | instid1(VALU_DEP_3)
	v_mul_lo_u32 v9, v3, v9
	v_mul_lo_u32 v3, v3, v85
	v_fma_f32 v39, v27, v32, -v13
	v_mul_f32_e32 v27, v27, v33
	s_delay_alu instid0(VALU_DEP_1) | instskip(SKIP_1) | instid1(VALU_DEP_2)
	v_dual_fmac_f32 v27, v66, v32 :: v_dual_and_b32 v12, 0xff, v9
	v_lshrrev_b32_e32 v9, 5, v9
	v_dual_sub_f32 v27, v92, v27 :: v_dual_lshlrev_b32 v12, 3, v12
	s_delay_alu instid0(VALU_DEP_2)
	v_and_b32_e32 v9, 0x7f8, v9
	s_clause 0x1
	global_load_b64 v[12:13], v12, s[0:1]
	global_load_b64 v[20:21], v9, s[0:1] offset:2048
	s_wait_loadcnt 0xc
	v_dual_mul_f32 v32, v11, v38 :: v_dual_and_b32 v9, 0xff, v3
	v_lshrrev_b32_e32 v3, 5, v3
	s_delay_alu instid0(VALU_DEP_2) | instskip(NEXT) | instid1(VALU_DEP_3)
	v_dual_mul_f32 v38, v10, v38 :: v_dual_lshlrev_b32 v9, 3, v9
	v_fma_f32 v66, v10, v37, -v32
	s_delay_alu instid0(VALU_DEP_2)
	v_dual_fmac_f32 v38, v11, v37 :: v_dual_and_b32 v3, 0x7f8, v3
	s_clause 0x1
	global_load_b64 v[9:10], v9, s[0:1]
	global_load_b64 v[32:33], v3, s[0:1] offset:2048
	ds_load_b32 v3, v19
	ds_load_b32 v11, v18
	v_dual_sub_f32 v18, v93, v39 :: v_dual_sub_f32 v19, v26, v94
	v_sub_f32_e32 v39, v81, v96
	s_delay_alu instid0(VALU_DEP_2) | instskip(NEXT) | instid1(VALU_DEP_2)
	v_fma_f32 v26, v26, 2.0, -v19
	v_fma_f32 v25, v81, 2.0, -v39
	v_add_f32_e32 v81, v71, v72
	s_wait_dscnt 0x1
	v_sub_f32_e32 v0, v3, v82
	s_wait_dscnt 0x0
	v_sub_f32_e32 v37, v11, v86
	s_delay_alu instid0(VALU_DEP_1) | instskip(SKIP_4) | instid1(VALU_DEP_3)
	v_add_f32_e32 v82, v37, v39
	v_fma_f32 v11, v11, 2.0, -v37
	v_fma_f32 v39, v83, 2.0, -v72
	;; [unrolled: 1-line block ×4, first 2 shown]
	v_sub_f32_e32 v89, v24, v39
	s_wait_loadcnt 0xc
	v_mul_f32_e32 v79, v6, v8
	v_mul_f32_e32 v8, v5, v8
	s_delay_alu instid0(VALU_DEP_2) | instskip(NEXT) | instid1(VALU_DEP_2)
	v_fma_f32 v5, v5, v7, -v79
	v_fmac_f32_e32 v8, v6, v7
	s_wait_loadcnt 0xa
	v_mul_f32_e32 v77, v15, v31
	s_wait_loadcnt 0x8
	v_dual_mul_f32 v31, v14, v31 :: v_dual_mul_f32 v78, v35, v42
	v_dual_mul_f32 v42, v34, v42 :: v_dual_sub_f32 v85, v51, v36
	s_delay_alu instid0(VALU_DEP_3) | instskip(NEXT) | instid1(VALU_DEP_3)
	v_fma_f32 v77, v14, v30, -v77
	v_fmac_f32_e32 v31, v15, v30
	s_wait_loadcnt 0x6
	v_mul_f32_e32 v14, v44, v46
	s_wait_loadcnt 0x4
	v_dual_mul_f32 v15, v48, v50 :: v_dual_fmac_f32 v42, v35, v41
	v_fma_f32 v78, v34, v41, -v78
	v_fma_f32 v30, v92, 2.0, -v27
	v_fma_f32 v41, v3, 2.0, -v0
	v_mul_f32_e32 v46, v43, v46
	v_dual_add_f32 v34, v0, v18 :: v_dual_sub_f32 v35, v19, v27
	v_fma_f32 v3, v93, 2.0, -v18
	v_fma_f32 v18, v87, 2.0, -v70
	v_sub_f32_e32 v70, v69, v70
	v_add_f32_e32 v72, v75, v76
	v_fma_f32 v36, v100, 2.0, -v76
	v_fma_f32 v76, v43, v45, -v14
	v_sub_f32_e32 v43, v41, v30
	v_mul_f32_e32 v50, v47, v50
	v_fma_f32 v27, v80, 2.0, -v74
	v_sub_f32_e32 v74, v73, v74
	v_fma_f32 v80, v91, 2.0, -v71
	v_fma_f32 v86, v4, 2.0, -v51
	v_fmac_f32_e32 v46, v44, v45
	v_fma_f32 v87, v47, v49, -v15
	v_dual_sub_f32 v47, v11, v18 :: v_dual_sub_f32 v44, v26, v3
	v_mul_f32_e32 v15, v35, v53
	v_fma_f32 v0, v0, 2.0, -v34
	v_fma_f32 v45, v19, 2.0, -v35
	v_mul_f32_e32 v4, v85, v55
	v_mul_f32_e32 v3, v72, v55
	v_sub_f32_e32 v55, v83, v29
	v_fmac_f32_e32 v50, v48, v49
	v_dual_sub_f32 v48, v84, v25 :: v_dual_mul_f32 v29, v81, v31
	v_mul_f32_e32 v14, v34, v53
	v_dual_sub_f32 v88, v80, v27 :: v_dual_mul_f32 v19, v70, v61
	v_fma_f32 v73, v73, 2.0, -v74
	v_sub_f32_e32 v90, v86, v36
	v_mul_f32_e32 v25, v74, v31
	v_dual_mul_f32 v31, v43, v56 :: v_dual_mul_f32 v30, v45, v58
	v_dual_fmac_f32 v19, v82, v64 :: v_dual_mul_f32 v36, v0, v58
	s_delay_alu instid0(VALU_DEP_3)
	v_fmac_f32_e32 v25, v81, v77
	v_fma_f32 v53, v41, 2.0, -v43
	v_fma_f32 v14, v35, v54, -v14
	v_dual_mul_f32 v58, v47, v63 :: v_dual_fmac_f32 v15, v34, v54
	v_fma_f32 v54, v84, 2.0, -v48
	v_mul_f32_e32 v35, v48, v63
	v_fma_f32 v11, v11, 2.0, -v47
	v_dual_mul_f32 v41, v73, v46 :: v_dual_fmac_f32 v30, v0, v59
	v_fma_f32 v63, v24, 2.0, -v89
	v_fma_f32 v24, v74, v77, -v29
	v_fma_f32 v29, v45, v59, -v36
	v_dual_mul_f32 v0, v53, v60 :: v_dual_mul_f32 v45, v54, v38
	v_mul_f32_e32 v27, v44, v56
	v_fma_f32 v56, v26, 2.0, -v44
	v_dual_mul_f32 v39, v89, v42 :: v_dual_fmac_f32 v4, v72, v52
	v_dual_mul_f32 v42, v88, v42 :: v_dual_fmac_f32 v35, v47, v65
	v_fma_f32 v26, v44, v57, -v31
	v_mul_f32_e32 v31, v11, v38
	v_fmac_f32_e32 v45, v11, v66
	s_wait_loadcnt 0x2
	v_mul_f32_e32 v11, v12, v21
	v_fma_f32 v49, v37, 2.0, -v82
	v_fma_f32 v69, v69, 2.0, -v70
	;; [unrolled: 1-line block ×3, first 2 shown]
	v_fmac_f32_e32 v39, v88, v78
	v_fma_f32 v38, v89, v78, -v42
	v_fma_f32 v42, v56, v62, -v0
	v_mul_f32_e32 v0, v13, v21
	v_fmac_f32_e32 v11, v13, v20
	v_fma_f32 v21, v75, 2.0, -v72
	v_dual_mul_f32 v18, v82, v61 :: v_dual_mul_f32 v37, v69, v40
	v_dual_mul_f32 v40, v49, v40 :: v_dual_fmac_f32 v27, v43, v57
	v_dual_mul_f32 v46, v71, v46 :: v_dual_mul_f32 v43, v56, v60
	v_mul_f32_e32 v47, v63, v50
	v_fma_f32 v7, v51, 2.0, -v85
	v_fma_f32 v20, v12, v20, -v0
	v_dual_mul_f32 v1, v21, v11 :: v_dual_add_nc_u32 v0, s6, v1
	v_fma_f32 v61, v80, 2.0, -v88
	v_dual_fmac_f32 v37, v49, v67 :: v_dual_mul_f32 v6, v90, v8
	v_fmac_f32_e32 v43, v53, v62
	v_mul_f32_e32 v13, v55, v8
	v_mul_f32_e32 v8, v7, v11
	v_mad_co_u64_u32 v[11:12], null, s4, v68, v[0:1]
	v_fma_f32 v7, v7, v20, -v1
	s_wait_loadcnt 0x0
	v_dual_mov_b32 v12, 0 :: v_dual_mul_f32 v1, v10, v33
	v_dual_fmac_f32 v47, v61, v87 :: v_dual_fmac_f32 v6, v55, v5
	v_fma_f32 v5, v90, v5, -v13
	v_mul_f32_e32 v13, v9, v33
	s_delay_alu instid0(VALU_DEP_4)
	v_fma_f32 v1, v9, v32, -v1
	v_or_b32_e32 v9, 16, v68
	v_fma_f32 v34, v48, v65, -v58
	v_or_b32_e32 v48, 32, v68
	v_fmac_f32_e32 v8, v21, v20
	v_fma_f32 v20, v86, 2.0, -v90
	v_fmac_f32_e32 v13, v32, v10
	v_fma_f32 v33, v83, 2.0, -v55
	v_fma_f32 v44, v54, v66, -v31
	v_mad_co_u64_u32 v[31:32], null, s4, v9, v[0:1]
	v_mov_b32_e32 v32, v12
	v_mad_co_u64_u32 v[48:49], null, s4, v48, v[0:1]
	v_mul_f32_e32 v21, v20, v13
	v_mul_f32_e32 v13, v33, v13
	v_lshlrev_b64_e32 v[10:11], 3, v[11:12]
	v_mov_b32_e32 v49, v12
	v_lshlrev_b64_e32 v[31:32], 3, v[31:32]
	v_fmac_f32_e32 v21, v33, v1
	v_fma_f32 v20, v20, v1, -v13
	v_or_b32_e32 v1, 48, v68
	v_add_co_u32 v9, vcc_lo, s2, v10
	v_lshlrev_b64_e32 v[48:49], 3, v[48:49]
	s_wait_alu 0xfffd
	v_add_co_ci_u32_e32 v10, vcc_lo, s3, v11, vcc_lo
	v_fma_f32 v36, v69, v67, -v40
	v_fmac_f32_e32 v41, v71, v76
	v_fma_f32 v40, v73, v76, -v46
	v_mul_f32_e32 v46, v61, v50
	v_add_co_u32 v31, vcc_lo, s2, v31
	v_mad_co_u64_u32 v[50:51], null, s4, v1, v[0:1]
	s_wait_alu 0xfffd
	v_add_co_ci_u32_e32 v32, vcc_lo, s3, v32, vcc_lo
	v_add_co_u32 v48, vcc_lo, s2, v48
	v_mov_b32_e32 v51, v12
	v_and_or_b32 v1, 0x1c0, v17, v28
	s_wait_alu 0xfffd
	v_add_co_ci_u32_e32 v49, vcc_lo, s3, v49, vcc_lo
	s_clause 0x2
	global_store_b64 v[9:10], v[20:21], off
	global_store_b64 v[31:32], v[7:8], off
	;; [unrolled: 1-line block ×3, first 2 shown]
	v_lshlrev_b64_e32 v[5:6], 3, v[50:51]
	v_or_b32_e32 v9, 16, v1
	v_mad_co_u64_u32 v[7:8], null, s4, v1, v[0:1]
	v_mov_b32_e32 v8, v12
	v_or_b32_e32 v11, 32, v1
	s_delay_alu instid0(VALU_DEP_4)
	v_mad_co_u64_u32 v[9:10], null, s4, v9, v[0:1]
	v_add_co_u32 v5, vcc_lo, s2, v5
	v_fma_f32 v3, v85, v52, -v3
	s_wait_alu 0xfffd
	v_add_co_ci_u32_e32 v6, vcc_lo, s3, v6, vcc_lo
	v_mov_b32_e32 v10, v12
	v_lshlrev_b64_e32 v[7:8], 3, v[7:8]
	v_mad_co_u64_u32 v[20:21], null, s4, v11, v[0:1]
	v_mov_b32_e32 v21, v12
	global_store_b64 v[5:6], v[3:4], off
	v_lshlrev_b64_e32 v[3:4], 3, v[9:10]
	v_add_co_u32 v5, vcc_lo, s2, v7
	v_or_b32_e32 v1, 48, v1
	s_wait_alu 0xfffd
	v_add_co_ci_u32_e32 v6, vcc_lo, s3, v8, vcc_lo
	v_lshlrev_b64_e32 v[7:8], 3, v[20:21]
	v_add_co_u32 v3, vcc_lo, s2, v3
	v_mad_co_u64_u32 v[9:10], null, s4, v1, v[0:1]
	s_wait_alu 0xfffd
	v_add_co_ci_u32_e32 v4, vcc_lo, s3, v4, vcc_lo
	v_fma_f32 v46, v63, v87, -v46
	v_add_co_u32 v7, vcc_lo, s2, v7
	v_mov_b32_e32 v10, v12
	v_and_or_b32 v1, 0x1c0, v16, v22
	s_wait_alu 0xfffd
	v_add_co_ci_u32_e32 v8, vcc_lo, s3, v8, vcc_lo
	s_clause 0x2
	global_store_b64 v[5:6], v[46:47], off
	global_store_b64 v[3:4], v[40:41], off
	;; [unrolled: 1-line block ×3, first 2 shown]
	v_lshlrev_b64_e32 v[3:4], 3, v[9:10]
	v_or_b32_e32 v7, 16, v1
	v_mad_co_u64_u32 v[5:6], null, s4, v1, v[0:1]
	v_or_b32_e32 v9, 32, v1
	v_mov_b32_e32 v6, v12
	s_delay_alu instid0(VALU_DEP_4)
	v_mad_co_u64_u32 v[7:8], null, s4, v7, v[0:1]
	v_add_co_u32 v3, vcc_lo, s2, v3
	s_wait_alu 0xfffd
	v_add_co_ci_u32_e32 v4, vcc_lo, s3, v4, vcc_lo
	v_mov_b32_e32 v8, v12
	v_mad_co_u64_u32 v[9:10], null, s4, v9, v[0:1]
	v_lshlrev_b64_e32 v[5:6], 3, v[5:6]
	v_mov_b32_e32 v10, v12
	v_or_b32_e32 v1, 48, v1
	global_store_b64 v[3:4], v[24:25], off
	v_lshlrev_b64_e32 v[3:4], 3, v[7:8]
	v_and_or_b32 v11, 0x1c0, v2, v23
	v_add_co_u32 v5, vcc_lo, s2, v5
	v_lshlrev_b64_e32 v[7:8], 3, v[9:10]
	v_mad_co_u64_u32 v[9:10], null, s4, v1, v[0:1]
	s_wait_alu 0xfffd
	v_add_co_ci_u32_e32 v6, vcc_lo, s3, v6, vcc_lo
	v_add_co_u32 v3, vcc_lo, s2, v3
	v_mov_b32_e32 v10, v12
	s_wait_alu 0xfffd
	v_add_co_ci_u32_e32 v4, vcc_lo, s3, v4, vcc_lo
	v_add_co_u32 v7, vcc_lo, s2, v7
	s_wait_alu 0xfffd
	v_add_co_ci_u32_e32 v8, vcc_lo, s3, v8, vcc_lo
	v_lshlrev_b64_e32 v[1:2], 3, v[9:10]
	s_clause 0x2
	global_store_b64 v[5:6], v[44:45], off
	global_store_b64 v[3:4], v[36:37], off
	;; [unrolled: 1-line block ×3, first 2 shown]
	v_or_b32_e32 v5, 16, v11
	v_or_b32_e32 v7, 32, v11
	;; [unrolled: 1-line block ×3, first 2 shown]
	v_fma_f32 v18, v70, v64, -v18
	v_mad_co_u64_u32 v[3:4], null, s4, v11, v[0:1]
	v_mad_co_u64_u32 v[5:6], null, s4, v5, v[0:1]
	v_mov_b32_e32 v6, v12
	v_add_co_u32 v1, vcc_lo, s2, v1
	v_mov_b32_e32 v4, v12
	s_wait_alu 0xfffd
	v_add_co_ci_u32_e32 v2, vcc_lo, s3, v2, vcc_lo
	s_delay_alu instid0(VALU_DEP_3) | instskip(NEXT) | instid1(VALU_DEP_3)
	v_mad_co_u64_u32 v[7:8], null, s4, v7, v[0:1]
	v_lshlrev_b64_e32 v[3:4], 3, v[3:4]
	v_mov_b32_e32 v8, v12
	v_mad_co_u64_u32 v[9:10], null, s4, v9, v[0:1]
	v_lshlrev_b64_e32 v[5:6], 3, v[5:6]
	v_mov_b32_e32 v10, v12
	v_add_co_u32 v3, vcc_lo, s2, v3
	v_lshlrev_b64_e32 v[7:8], 3, v[7:8]
	s_wait_alu 0xfffd
	v_add_co_ci_u32_e32 v4, vcc_lo, s3, v4, vcc_lo
	v_add_co_u32 v5, vcc_lo, s2, v5
	v_lshlrev_b64_e32 v[9:10], 3, v[9:10]
	s_wait_alu 0xfffd
	v_add_co_ci_u32_e32 v6, vcc_lo, s3, v6, vcc_lo
	v_add_co_u32 v7, vcc_lo, s2, v7
	s_wait_alu 0xfffd
	v_add_co_ci_u32_e32 v8, vcc_lo, s3, v8, vcc_lo
	v_add_co_u32 v9, vcc_lo, s2, v9
	s_wait_alu 0xfffd
	v_add_co_ci_u32_e32 v10, vcc_lo, s3, v10, vcc_lo
	s_clause 0x4
	global_store_b64 v[1:2], v[18:19], off
	global_store_b64 v[3:4], v[42:43], off
	;; [unrolled: 1-line block ×5, first 2 shown]
.LBB0_36:
	s_nop 0
	s_sendmsg sendmsg(MSG_DEALLOC_VGPRS)
	s_endpgm
	.section	.rodata,"a",@progbits
	.p2align	6, 0x0
	.amdhsa_kernel fft_rtc_fwd_len64_factors_4_4_4_wgs_64_tpt_4_halfLds_dim2_sp_ip_CI_sbcc_twdbase8_2step_dirReg_intrinsicReadWrite
		.amdhsa_group_segment_fixed_size 0
		.amdhsa_private_segment_fixed_size 0
		.amdhsa_kernarg_size 88
		.amdhsa_user_sgpr_count 2
		.amdhsa_user_sgpr_dispatch_ptr 0
		.amdhsa_user_sgpr_queue_ptr 0
		.amdhsa_user_sgpr_kernarg_segment_ptr 1
		.amdhsa_user_sgpr_dispatch_id 0
		.amdhsa_user_sgpr_private_segment_size 0
		.amdhsa_wavefront_size32 1
		.amdhsa_uses_dynamic_stack 0
		.amdhsa_enable_private_segment 0
		.amdhsa_system_sgpr_workgroup_id_x 1
		.amdhsa_system_sgpr_workgroup_id_y 0
		.amdhsa_system_sgpr_workgroup_id_z 0
		.amdhsa_system_sgpr_workgroup_info 0
		.amdhsa_system_vgpr_workitem_id 0
		.amdhsa_next_free_vgpr 102
		.amdhsa_next_free_sgpr 20
		.amdhsa_reserve_vcc 1
		.amdhsa_float_round_mode_32 0
		.amdhsa_float_round_mode_16_64 0
		.amdhsa_float_denorm_mode_32 3
		.amdhsa_float_denorm_mode_16_64 3
		.amdhsa_fp16_overflow 0
		.amdhsa_workgroup_processor_mode 1
		.amdhsa_memory_ordered 1
		.amdhsa_forward_progress 0
		.amdhsa_round_robin_scheduling 0
		.amdhsa_exception_fp_ieee_invalid_op 0
		.amdhsa_exception_fp_denorm_src 0
		.amdhsa_exception_fp_ieee_div_zero 0
		.amdhsa_exception_fp_ieee_overflow 0
		.amdhsa_exception_fp_ieee_underflow 0
		.amdhsa_exception_fp_ieee_inexact 0
		.amdhsa_exception_int_div_zero 0
	.end_amdhsa_kernel
	.text
.Lfunc_end0:
	.size	fft_rtc_fwd_len64_factors_4_4_4_wgs_64_tpt_4_halfLds_dim2_sp_ip_CI_sbcc_twdbase8_2step_dirReg_intrinsicReadWrite, .Lfunc_end0-fft_rtc_fwd_len64_factors_4_4_4_wgs_64_tpt_4_halfLds_dim2_sp_ip_CI_sbcc_twdbase8_2step_dirReg_intrinsicReadWrite
                                        ; -- End function
	.section	.AMDGPU.csdata,"",@progbits
; Kernel info:
; codeLenInByte = 7436
; NumSgprs: 22
; NumVgprs: 102
; ScratchSize: 0
; MemoryBound: 0
; FloatMode: 240
; IeeeMode: 1
; LDSByteSize: 0 bytes/workgroup (compile time only)
; SGPRBlocks: 2
; VGPRBlocks: 12
; NumSGPRsForWavesPerEU: 22
; NumVGPRsForWavesPerEU: 102
; Occupancy: 12
; WaveLimiterHint : 1
; COMPUTE_PGM_RSRC2:SCRATCH_EN: 0
; COMPUTE_PGM_RSRC2:USER_SGPR: 2
; COMPUTE_PGM_RSRC2:TRAP_HANDLER: 0
; COMPUTE_PGM_RSRC2:TGID_X_EN: 1
; COMPUTE_PGM_RSRC2:TGID_Y_EN: 0
; COMPUTE_PGM_RSRC2:TGID_Z_EN: 0
; COMPUTE_PGM_RSRC2:TIDIG_COMP_CNT: 0
	.text
	.p2alignl 7, 3214868480
	.fill 96, 4, 3214868480
	.type	__hip_cuid_45badb75dabca711,@object ; @__hip_cuid_45badb75dabca711
	.section	.bss,"aw",@nobits
	.globl	__hip_cuid_45badb75dabca711
__hip_cuid_45badb75dabca711:
	.byte	0                               ; 0x0
	.size	__hip_cuid_45badb75dabca711, 1

	.ident	"AMD clang version 19.0.0git (https://github.com/RadeonOpenCompute/llvm-project roc-6.4.0 25133 c7fe45cf4b819c5991fe208aaa96edf142730f1d)"
	.section	".note.GNU-stack","",@progbits
	.addrsig
	.addrsig_sym __hip_cuid_45badb75dabca711
	.amdgpu_metadata
---
amdhsa.kernels:
  - .args:
      - .actual_access:  read_only
        .address_space:  global
        .offset:         0
        .size:           8
        .value_kind:     global_buffer
      - .address_space:  global
        .offset:         8
        .size:           8
        .value_kind:     global_buffer
      - .actual_access:  read_only
        .address_space:  global
        .offset:         16
        .size:           8
        .value_kind:     global_buffer
      - .actual_access:  read_only
        .address_space:  global
        .offset:         24
        .size:           8
        .value_kind:     global_buffer
      - .offset:         32
        .size:           8
        .value_kind:     by_value
      - .actual_access:  read_only
        .address_space:  global
        .offset:         40
        .size:           8
        .value_kind:     global_buffer
      - .actual_access:  read_only
        .address_space:  global
        .offset:         48
        .size:           8
        .value_kind:     global_buffer
      - .offset:         56
        .size:           4
        .value_kind:     by_value
      - .actual_access:  read_only
        .address_space:  global
        .offset:         64
        .size:           8
        .value_kind:     global_buffer
      - .actual_access:  read_only
        .address_space:  global
        .offset:         72
        .size:           8
        .value_kind:     global_buffer
      - .address_space:  global
        .offset:         80
        .size:           8
        .value_kind:     global_buffer
    .group_segment_fixed_size: 0
    .kernarg_segment_align: 8
    .kernarg_segment_size: 88
    .language:       OpenCL C
    .language_version:
      - 2
      - 0
    .max_flat_workgroup_size: 64
    .name:           fft_rtc_fwd_len64_factors_4_4_4_wgs_64_tpt_4_halfLds_dim2_sp_ip_CI_sbcc_twdbase8_2step_dirReg_intrinsicReadWrite
    .private_segment_fixed_size: 0
    .sgpr_count:     22
    .sgpr_spill_count: 0
    .symbol:         fft_rtc_fwd_len64_factors_4_4_4_wgs_64_tpt_4_halfLds_dim2_sp_ip_CI_sbcc_twdbase8_2step_dirReg_intrinsicReadWrite.kd
    .uniform_work_group_size: 1
    .uses_dynamic_stack: false
    .vgpr_count:     102
    .vgpr_spill_count: 0
    .wavefront_size: 32
    .workgroup_processor_mode: 1
amdhsa.target:   amdgcn-amd-amdhsa--gfx1201
amdhsa.version:
  - 1
  - 2
...

	.end_amdgpu_metadata
